;; amdgpu-corpus repo=ROCm/rocFFT kind=compiled arch=gfx950 opt=O3
	.text
	.amdgcn_target "amdgcn-amd-amdhsa--gfx950"
	.amdhsa_code_object_version 6
	.protected	fft_rtc_back_len450_factors_10_5_3_3_wgs_120_tpt_30_halfLds_dp_op_CI_CI_unitstride_sbrr_C2R_dirReg ; -- Begin function fft_rtc_back_len450_factors_10_5_3_3_wgs_120_tpt_30_halfLds_dp_op_CI_CI_unitstride_sbrr_C2R_dirReg
	.globl	fft_rtc_back_len450_factors_10_5_3_3_wgs_120_tpt_30_halfLds_dp_op_CI_CI_unitstride_sbrr_C2R_dirReg
	.p2align	8
	.type	fft_rtc_back_len450_factors_10_5_3_3_wgs_120_tpt_30_halfLds_dp_op_CI_CI_unitstride_sbrr_C2R_dirReg,@function
fft_rtc_back_len450_factors_10_5_3_3_wgs_120_tpt_30_halfLds_dp_op_CI_CI_unitstride_sbrr_C2R_dirReg: ; @fft_rtc_back_len450_factors_10_5_3_3_wgs_120_tpt_30_halfLds_dp_op_CI_CI_unitstride_sbrr_C2R_dirReg
; %bb.0:
	s_load_dwordx4 s[4:7], s[0:1], 0x58
	s_load_dwordx4 s[8:11], s[0:1], 0x0
	;; [unrolled: 1-line block ×3, first 2 shown]
	v_mul_u32_u24_e32 v1, 0x889, v0
	v_lshrrev_b32_e32 v1, 16, v1
	v_lshl_add_u32 v6, s2, 2, v1
	v_mov_b32_e32 v4, 0
	s_waitcnt lgkmcnt(0)
	v_cmp_lt_u64_e64 s[2:3], s[10:11], 2
	v_mov_b32_e32 v7, v4
	s_and_b64 vcc, exec, s[2:3]
	v_mov_b64_e32 v[2:3], 0
	s_cbranch_vccnz .LBB0_8
; %bb.1:
	s_load_dwordx2 s[2:3], s[0:1], 0x10
	s_add_u32 s16, s14, 8
	s_addc_u32 s17, s15, 0
	s_add_u32 s18, s12, 8
	s_addc_u32 s19, s13, 0
	s_waitcnt lgkmcnt(0)
	s_add_u32 s20, s2, 8
	v_mov_b64_e32 v[2:3], 0
	s_addc_u32 s21, s3, 0
	s_mov_b64 s[22:23], 1
	v_mov_b64_e32 v[80:81], v[2:3]
.LBB0_2:                                ; =>This Inner Loop Header: Depth=1
	s_load_dwordx2 s[24:25], s[20:21], 0x0
                                        ; implicit-def: $vgpr82_vgpr83
	s_waitcnt lgkmcnt(0)
	v_or_b32_e32 v5, s25, v7
	v_cmp_ne_u64_e32 vcc, 0, v[4:5]
	s_and_saveexec_b64 s[2:3], vcc
	s_xor_b64 s[26:27], exec, s[2:3]
	s_cbranch_execz .LBB0_4
; %bb.3:                                ;   in Loop: Header=BB0_2 Depth=1
	v_cvt_f32_u32_e32 v5, s24
	v_cvt_f32_u32_e32 v8, s25
	s_sub_u32 s2, 0, s24
	s_subb_u32 s3, 0, s25
	v_fmac_f32_e32 v5, 0x4f800000, v8
	v_rcp_f32_e32 v5, v5
	s_nop 0
	v_mul_f32_e32 v5, 0x5f7ffffc, v5
	v_mul_f32_e32 v8, 0x2f800000, v5
	v_trunc_f32_e32 v8, v8
	v_fmac_f32_e32 v5, 0xcf800000, v8
	v_cvt_u32_f32_e32 v12, v8
	v_cvt_u32_f32_e32 v5, v5
	v_mul_lo_u32 v8, s2, v12
	v_mul_hi_u32 v10, s2, v5
	v_mul_lo_u32 v9, s3, v5
	v_add_u32_e32 v10, v10, v8
	v_mul_lo_u32 v13, s2, v5
	v_add_u32_e32 v14, v10, v9
	v_mul_hi_u32 v8, v5, v13
	v_mul_hi_u32 v11, v5, v14
	v_mul_lo_u32 v10, v5, v14
	v_mov_b32_e32 v9, v4
	v_lshl_add_u64 v[8:9], v[8:9], 0, v[10:11]
	v_mul_hi_u32 v11, v12, v13
	v_mul_lo_u32 v13, v12, v13
	v_add_co_u32_e32 v8, vcc, v8, v13
	v_mul_hi_u32 v10, v12, v14
	s_nop 0
	v_addc_co_u32_e32 v8, vcc, v9, v11, vcc
	v_mov_b32_e32 v9, v4
	s_nop 0
	v_addc_co_u32_e32 v11, vcc, 0, v10, vcc
	v_mul_lo_u32 v10, v12, v14
	v_lshl_add_u64 v[8:9], v[8:9], 0, v[10:11]
	v_add_co_u32_e32 v5, vcc, v5, v8
	v_mul_lo_u32 v10, s2, v5
	s_nop 0
	v_addc_co_u32_e32 v12, vcc, v12, v9, vcc
	v_mul_lo_u32 v8, s2, v12
	v_mul_hi_u32 v9, s2, v5
	v_add_u32_e32 v8, v9, v8
	v_mul_lo_u32 v9, s3, v5
	v_add_u32_e32 v13, v8, v9
	v_mul_hi_u32 v15, v12, v10
	v_mul_lo_u32 v16, v12, v10
	v_mul_hi_u32 v9, v5, v13
	v_mul_lo_u32 v8, v5, v13
	v_mul_hi_u32 v10, v5, v10
	v_mov_b32_e32 v11, v4
	v_lshl_add_u64 v[8:9], v[10:11], 0, v[8:9]
	v_add_co_u32_e32 v8, vcc, v8, v16
	v_mul_hi_u32 v14, v12, v13
	s_nop 0
	v_addc_co_u32_e32 v8, vcc, v9, v15, vcc
	v_mul_lo_u32 v10, v12, v13
	s_nop 0
	v_addc_co_u32_e32 v11, vcc, 0, v14, vcc
	v_mov_b32_e32 v9, v4
	v_lshl_add_u64 v[8:9], v[8:9], 0, v[10:11]
	v_add_co_u32_e32 v5, vcc, v5, v8
	v_mul_hi_u32 v10, v6, v5
	s_nop 0
	v_addc_co_u32_e32 v12, vcc, v12, v9, vcc
	v_mad_u64_u32 v[8:9], s[2:3], v6, v12, 0
	v_mov_b32_e32 v11, v4
	v_lshl_add_u64 v[8:9], v[10:11], 0, v[8:9]
	v_mad_u64_u32 v[10:11], s[2:3], v7, v12, 0
	v_mad_u64_u32 v[12:13], s[2:3], v7, v5, 0
	v_add_co_u32_e32 v5, vcc, v8, v12
	s_nop 1
	v_addc_co_u32_e32 v8, vcc, v9, v13, vcc
	v_mov_b32_e32 v9, v4
	s_nop 0
	v_addc_co_u32_e32 v11, vcc, 0, v11, vcc
	v_lshl_add_u64 v[8:9], v[8:9], 0, v[10:11]
	v_mul_lo_u32 v5, s25, v8
	v_mul_lo_u32 v12, s24, v9
	v_mad_u64_u32 v[10:11], s[2:3], s24, v8, 0
	v_add3_u32 v5, v11, v12, v5
	v_sub_u32_e32 v11, v7, v5
	v_mov_b32_e32 v12, s25
	v_sub_co_u32_e32 v14, vcc, v6, v10
	s_nop 1
	v_subb_co_u32_e64 v10, s[2:3], v11, v12, vcc
	v_subrev_co_u32_e64 v11, s[2:3], s24, v14
	v_subb_co_u32_e32 v5, vcc, v7, v5, vcc
	s_nop 0
	v_subbrev_co_u32_e64 v10, s[2:3], 0, v10, s[2:3]
	v_cmp_le_u32_e64 s[2:3], s25, v10
	v_cmp_le_u32_e32 vcc, s25, v5
	s_nop 0
	v_cndmask_b32_e64 v12, 0, -1, s[2:3]
	v_cmp_le_u32_e64 s[2:3], s24, v11
	s_nop 1
	v_cndmask_b32_e64 v11, 0, -1, s[2:3]
	v_cmp_eq_u32_e64 s[2:3], s25, v10
	s_nop 1
	v_cndmask_b32_e64 v15, v12, v11, s[2:3]
	v_lshl_add_u64 v[10:11], v[8:9], 0, 2
	v_lshl_add_u64 v[12:13], v[8:9], 0, 1
	v_cmp_ne_u32_e64 s[2:3], 0, v15
	s_nop 1
	v_cndmask_b32_e64 v11, v13, v11, s[2:3]
	v_cndmask_b32_e64 v13, 0, -1, vcc
	v_cmp_le_u32_e32 vcc, s24, v14
	s_nop 1
	v_cndmask_b32_e64 v14, 0, -1, vcc
	v_cmp_eq_u32_e32 vcc, s25, v5
	s_nop 1
	v_cndmask_b32_e32 v5, v13, v14, vcc
	v_cmp_ne_u32_e32 vcc, 0, v5
	v_cndmask_b32_e64 v5, v12, v10, s[2:3]
	s_nop 0
	v_cndmask_b32_e32 v83, v9, v11, vcc
	v_cndmask_b32_e32 v82, v8, v5, vcc
.LBB0_4:                                ;   in Loop: Header=BB0_2 Depth=1
	s_andn2_saveexec_b64 s[2:3], s[26:27]
	s_cbranch_execz .LBB0_6
; %bb.5:                                ;   in Loop: Header=BB0_2 Depth=1
	v_cvt_f32_u32_e32 v5, s24
	s_sub_i32 s26, 0, s24
	v_mov_b32_e32 v83, v4
	v_rcp_iflag_f32_e32 v5, v5
	s_nop 0
	v_mul_f32_e32 v5, 0x4f7ffffe, v5
	v_cvt_u32_f32_e32 v5, v5
	v_mul_lo_u32 v8, s26, v5
	v_mul_hi_u32 v8, v5, v8
	v_add_u32_e32 v5, v5, v8
	v_mul_hi_u32 v5, v6, v5
	v_mul_lo_u32 v8, v5, s24
	v_sub_u32_e32 v8, v6, v8
	v_add_u32_e32 v9, 1, v5
	v_subrev_u32_e32 v10, s24, v8
	v_cmp_le_u32_e32 vcc, s24, v8
	s_nop 1
	v_cndmask_b32_e32 v8, v8, v10, vcc
	v_cndmask_b32_e32 v5, v5, v9, vcc
	v_add_u32_e32 v9, 1, v5
	v_cmp_le_u32_e32 vcc, s24, v8
	s_nop 1
	v_cndmask_b32_e32 v82, v5, v9, vcc
.LBB0_6:                                ;   in Loop: Header=BB0_2 Depth=1
	s_or_b64 exec, exec, s[2:3]
	v_mad_u64_u32 v[8:9], s[2:3], v82, s24, 0
	s_load_dwordx2 s[2:3], s[18:19], 0x0
	v_mul_lo_u32 v5, v83, s24
	v_mul_lo_u32 v10, v82, s25
	s_load_dwordx2 s[24:25], s[16:17], 0x0
	s_add_u32 s22, s22, 1
	v_add3_u32 v5, v9, v10, v5
	v_sub_co_u32_e32 v6, vcc, v6, v8
	s_addc_u32 s23, s23, 0
	s_nop 0
	v_subb_co_u32_e32 v5, vcc, v7, v5, vcc
	s_add_u32 s16, s16, 8
	s_waitcnt lgkmcnt(0)
	v_mul_lo_u32 v7, s2, v5
	v_mul_lo_u32 v8, s3, v6
	v_mad_u64_u32 v[2:3], s[2:3], s2, v6, v[2:3]
	s_addc_u32 s17, s17, 0
	v_add3_u32 v3, v8, v3, v7
	v_mul_lo_u32 v5, s24, v5
	v_mul_lo_u32 v7, s25, v6
	v_mad_u64_u32 v[80:81], s[2:3], s24, v6, v[80:81]
	s_add_u32 s18, s18, 8
	v_add3_u32 v81, v7, v81, v5
	s_addc_u32 s19, s19, 0
	v_mov_b64_e32 v[6:7], s[10:11]
	s_add_u32 s20, s20, 8
	v_cmp_ge_u64_e32 vcc, s[22:23], v[6:7]
	s_addc_u32 s21, s21, 0
	s_cbranch_vccnz .LBB0_9
; %bb.7:                                ;   in Loop: Header=BB0_2 Depth=1
	v_mov_b64_e32 v[6:7], v[82:83]
	s_branch .LBB0_2
.LBB0_8:
	v_mov_b64_e32 v[80:81], v[2:3]
	v_mov_b64_e32 v[82:83], v[6:7]
.LBB0_9:
	s_load_dwordx2 s[18:19], s[0:1], 0x28
	s_lshl_b64 s[16:17], s[10:11], 3
	s_add_u32 s2, s14, s16
	v_and_b32_e32 v1, 3, v1
	s_addc_u32 s3, s15, s17
	s_waitcnt lgkmcnt(0)
	v_cmp_gt_u64_e64 s[0:1], s[18:19], v[82:83]
	v_cmp_le_u64_e32 vcc, s[18:19], v[82:83]
                                        ; implicit-def: $vgpr84
	s_and_saveexec_b64 s[10:11], vcc
	s_xor_b64 s[10:11], exec, s[10:11]
; %bb.10:
	s_mov_b32 s14, 0x8888889
	v_mul_hi_u32 v2, v0, s14
	v_mul_u32_u24_e32 v2, 30, v2
	v_sub_u32_e32 v84, v0, v2
                                        ; implicit-def: $vgpr0
                                        ; implicit-def: $vgpr2_vgpr3
; %bb.11:
	s_or_saveexec_b64 s[10:11], s[10:11]
	s_load_dwordx2 s[2:3], s[2:3], 0x0
	v_mul_u32_u24_e32 v89, 0x1c3, v1
	v_lshlrev_b32_e32 v88, 4, v89
	s_xor_b64 exec, exec, s[10:11]
	s_cbranch_execz .LBB0_15
; %bb.12:
	s_add_u32 s12, s12, s16
	s_addc_u32 s13, s13, s17
	s_load_dwordx2 s[12:13], s[12:13], 0x0
	s_mov_b32 s14, 0x8888889
	s_waitcnt lgkmcnt(0)
	v_mul_lo_u32 v1, s13, v82
	v_mul_lo_u32 v6, s12, v83
	v_mad_u64_u32 v[4:5], s[12:13], s12, v82, 0
	v_add3_u32 v5, v5, v6, v1
	v_mul_hi_u32 v1, v0, s14
	v_mul_u32_u24_e32 v1, 30, v1
	v_sub_u32_e32 v84, v0, v1
	v_lshl_add_u64 v[0:1], v[4:5], 4, s[4:5]
	v_lshl_add_u64 v[0:1], v[2:3], 4, v[0:1]
	v_lshlrev_b32_e32 v2, 4, v84
	v_mov_b32_e32 v3, 0
	v_lshl_add_u64 v[64:65], v[0:1], 0, v[2:3]
	s_movk_i32 s4, 0x1000
	v_add_co_u32_e32 v66, vcc, s4, v64
	global_load_dwordx4 v[4:7], v[64:65], off
	global_load_dwordx4 v[8:11], v[64:65], off offset:480
	global_load_dwordx4 v[12:15], v[64:65], off offset:960
	;; [unrolled: 1-line block ×7, first 2 shown]
	v_addc_co_u32_e32 v67, vcc, 0, v65, vcc
	global_load_dwordx4 v[36:39], v[64:65], off offset:3840
	global_load_dwordx4 v[40:43], v[66:67], off offset:224
	;; [unrolled: 1-line block ×7, first 2 shown]
	v_add3_u32 v2, 0, v88, v2
	v_cmp_eq_u32_e32 vcc, 29, v84
	s_waitcnt vmcnt(14)
	ds_write_b128 v2, v[4:7]
	s_waitcnt vmcnt(13)
	ds_write_b128 v2, v[8:11] offset:480
	s_waitcnt vmcnt(12)
	ds_write_b128 v2, v[12:15] offset:960
	;; [unrolled: 2-line block ×14, first 2 shown]
	s_and_saveexec_b64 s[4:5], vcc
	s_cbranch_execz .LBB0_14
; %bb.13:
	v_add_co_u32_e32 v0, vcc, 0x1000, v0
	v_mov_b32_e32 v84, 29
	s_nop 0
	v_addc_co_u32_e32 v1, vcc, 0, v1, vcc
	global_load_dwordx4 v[4:7], v[0:1], off offset:3104
	s_waitcnt vmcnt(0)
	ds_write_b128 v2, v[4:7] offset:6736
.LBB0_14:
	s_or_b64 exec, exec, s[4:5]
.LBB0_15:
	s_or_b64 exec, exec, s[10:11]
	v_lshl_add_u32 v86, v89, 4, 0
	v_lshlrev_b32_e32 v0, 4, v84
	v_add_u32_e32 v87, v86, v0
	s_waitcnt lgkmcnt(0)
	s_barrier
	v_sub_u32_e32 v14, v86, v0
	ds_read_b64 v[6:7], v87
	ds_read_b64 v[8:9], v14 offset:7200
	s_add_u32 s4, s8, 0x1b80
	s_addc_u32 s5, s9, 0
	v_cmp_ne_u32_e32 vcc, 0, v84
                                        ; implicit-def: $vgpr4_vgpr5
	s_waitcnt lgkmcnt(0)
	v_add_f64 v[0:1], v[6:7], v[8:9]
	v_add_f64 v[2:3], v[6:7], -v[8:9]
	s_and_saveexec_b64 s[10:11], vcc
	s_xor_b64 s[10:11], exec, s[10:11]
	s_cbranch_execz .LBB0_17
; %bb.16:
	v_mov_b32_e32 v85, 0
	v_lshl_add_u64 v[0:1], v[84:85], 4, s[4:5]
	global_load_dwordx4 v[10:13], v[0:1], off
	ds_read_b64 v[0:1], v14 offset:7208
	ds_read_b64 v[2:3], v87 offset:8
	v_add_f64 v[4:5], v[6:7], v[8:9]
	v_add_f64 v[8:9], v[6:7], -v[8:9]
	s_waitcnt lgkmcnt(0)
	v_add_f64 v[16:17], v[0:1], v[2:3]
	v_add_f64 v[0:1], v[2:3], -v[0:1]
	s_waitcnt vmcnt(0)
	v_fma_f64 v[18:19], v[8:9], v[12:13], v[4:5]
	v_fma_f64 v[4:5], -v[8:9], v[12:13], v[4:5]
	v_fma_f64 v[6:7], v[16:17], v[12:13], -v[0:1]
	v_fma_f64 v[2:3], v[16:17], v[12:13], v[0:1]
	v_fmac_f64_e32 v[4:5], v[16:17], v[10:11]
	v_fmac_f64_e32 v[6:7], v[8:9], v[10:11]
	v_fma_f64 v[0:1], -v[16:17], v[10:11], v[18:19]
	v_fmac_f64_e32 v[2:3], v[8:9], v[10:11]
	ds_write_b128 v14, v[4:7] offset:7200
	v_mov_b64_e32 v[4:5], v[84:85]
.LBB0_17:
	s_andn2_saveexec_b64 s[10:11], s[10:11]
	s_cbranch_execz .LBB0_19
; %bb.18:
	ds_read_b128 v[4:7], v86 offset:3600
	s_waitcnt lgkmcnt(0)
	v_add_f64 v[4:5], v[4:5], v[4:5]
	v_mul_f64 v[6:7], v[6:7], -2.0
	ds_write_b128 v86, v[4:7] offset:3600
	v_mov_b64_e32 v[4:5], 0
.LBB0_19:
	s_or_b64 exec, exec, s[10:11]
	v_lshl_add_u64 v[12:13], v[4:5], 4, s[4:5]
	global_load_dwordx4 v[8:11], v[12:13], off offset:480
	global_load_dwordx4 v[4:7], v[12:13], off offset:960
	;; [unrolled: 1-line block ×4, first 2 shown]
	ds_write_b128 v87, v[0:3]
	ds_read_b128 v[0:3], v87 offset:480
	ds_read_b128 v[24:27], v14 offset:6720
	global_load_dwordx4 v[28:31], v[12:13], off offset:2400
	v_cmp_gt_u32_e32 vcc, 15, v84
	s_waitcnt lgkmcnt(0)
	v_add_f64 v[32:33], v[0:1], v[24:25]
	v_add_f64 v[34:35], v[26:27], v[2:3]
	v_add_f64 v[36:37], v[0:1], -v[24:25]
	v_add_f64 v[0:1], v[2:3], -v[26:27]
	s_waitcnt vmcnt(4)
	v_fma_f64 v[38:39], v[36:37], v[10:11], v[32:33]
	v_fma_f64 v[2:3], v[34:35], v[10:11], v[0:1]
	v_fma_f64 v[24:25], -v[36:37], v[10:11], v[32:33]
	v_fma_f64 v[26:27], v[34:35], v[10:11], -v[0:1]
	v_fma_f64 v[0:1], -v[34:35], v[8:9], v[38:39]
	v_fmac_f64_e32 v[2:3], v[36:37], v[8:9]
	v_fmac_f64_e32 v[24:25], v[34:35], v[8:9]
	;; [unrolled: 1-line block ×3, first 2 shown]
	ds_write_b128 v87, v[0:3] offset:480
	ds_write_b128 v14, v[24:27] offset:6720
	ds_read_b128 v[0:3], v87 offset:960
	ds_read_b128 v[8:11], v14 offset:6240
	global_load_dwordx4 v[24:27], v[12:13], off offset:2880
	s_waitcnt lgkmcnt(0)
	v_add_f64 v[32:33], v[0:1], v[8:9]
	v_add_f64 v[34:35], v[10:11], v[2:3]
	v_add_f64 v[36:37], v[0:1], -v[8:9]
	v_add_f64 v[0:1], v[2:3], -v[10:11]
	s_waitcnt vmcnt(4)
	v_fma_f64 v[38:39], v[36:37], v[6:7], v[32:33]
	v_fma_f64 v[2:3], v[34:35], v[6:7], v[0:1]
	v_fma_f64 v[8:9], -v[36:37], v[6:7], v[32:33]
	v_fma_f64 v[10:11], v[34:35], v[6:7], -v[0:1]
	v_fma_f64 v[0:1], -v[34:35], v[4:5], v[38:39]
	v_fmac_f64_e32 v[2:3], v[36:37], v[4:5]
	v_fmac_f64_e32 v[8:9], v[34:35], v[4:5]
	v_fmac_f64_e32 v[10:11], v[36:37], v[4:5]
	ds_write_b128 v87, v[0:3] offset:960
	ds_write_b128 v14, v[8:11] offset:6240
	ds_read_b128 v[0:3], v87 offset:1440
	ds_read_b128 v[4:7], v14 offset:5760
	s_waitcnt lgkmcnt(0)
	v_add_f64 v[8:9], v[0:1], v[4:5]
	v_add_f64 v[10:11], v[6:7], v[2:3]
	v_add_f64 v[32:33], v[0:1], -v[4:5]
	v_add_f64 v[0:1], v[2:3], -v[6:7]
	s_waitcnt vmcnt(3)
	v_fma_f64 v[34:35], v[32:33], v[18:19], v[8:9]
	v_fma_f64 v[2:3], v[10:11], v[18:19], v[0:1]
	v_fma_f64 v[4:5], -v[32:33], v[18:19], v[8:9]
	v_fma_f64 v[6:7], v[10:11], v[18:19], -v[0:1]
	v_fma_f64 v[0:1], -v[10:11], v[16:17], v[34:35]
	v_fmac_f64_e32 v[2:3], v[32:33], v[16:17]
	v_fmac_f64_e32 v[4:5], v[10:11], v[16:17]
	v_fmac_f64_e32 v[6:7], v[32:33], v[16:17]
	ds_write_b128 v87, v[0:3] offset:1440
	ds_write_b128 v14, v[4:7] offset:5760
	ds_read_b128 v[0:3], v87 offset:1920
	ds_read_b128 v[4:7], v14 offset:5280
	;; [unrolled: 18-line block ×4, first 2 shown]
	s_waitcnt lgkmcnt(0)
	v_add_f64 v[8:9], v[0:1], v[4:5]
	v_add_f64 v[10:11], v[6:7], v[2:3]
	v_add_f64 v[16:17], v[0:1], -v[4:5]
	v_add_f64 v[0:1], v[2:3], -v[6:7]
	s_waitcnt vmcnt(0)
	v_fma_f64 v[18:19], v[16:17], v[26:27], v[8:9]
	v_fma_f64 v[2:3], v[10:11], v[26:27], v[0:1]
	v_fma_f64 v[4:5], -v[16:17], v[26:27], v[8:9]
	v_fma_f64 v[6:7], v[10:11], v[26:27], -v[0:1]
	v_fma_f64 v[0:1], -v[10:11], v[24:25], v[18:19]
	v_fmac_f64_e32 v[2:3], v[16:17], v[24:25]
	v_fmac_f64_e32 v[4:5], v[10:11], v[24:25]
	;; [unrolled: 1-line block ×3, first 2 shown]
	ds_write_b128 v87, v[0:3] offset:2880
	ds_write_b128 v14, v[4:7] offset:4320
	s_and_saveexec_b64 s[4:5], vcc
	s_cbranch_execz .LBB0_21
; %bb.20:
	global_load_dwordx4 v[0:3], v[12:13], off offset:3360
	ds_read_b128 v[4:7], v87 offset:3360
	ds_read_b128 v[8:11], v14 offset:3840
	s_waitcnt lgkmcnt(0)
	v_add_f64 v[12:13], v[4:5], v[8:9]
	v_add_f64 v[16:17], v[10:11], v[6:7]
	v_add_f64 v[18:19], v[4:5], -v[8:9]
	v_add_f64 v[8:9], v[6:7], -v[10:11]
	s_waitcnt vmcnt(0)
	v_fma_f64 v[10:11], v[18:19], v[2:3], v[12:13]
	v_fma_f64 v[4:5], v[16:17], v[2:3], v[8:9]
	v_fma_f64 v[6:7], -v[18:19], v[2:3], v[12:13]
	v_fma_f64 v[8:9], v[16:17], v[2:3], -v[8:9]
	v_fma_f64 v[2:3], -v[16:17], v[0:1], v[10:11]
	v_fmac_f64_e32 v[4:5], v[18:19], v[0:1]
	v_fmac_f64_e32 v[6:7], v[16:17], v[0:1]
	;; [unrolled: 1-line block ×3, first 2 shown]
	ds_write_b128 v87, v[2:5] offset:3360
	ds_write_b128 v14, v[6:9] offset:3840
.LBB0_21:
	s_or_b64 exec, exec, s[4:5]
	v_lshl_add_u32 v4, v84, 4, 0
	s_waitcnt lgkmcnt(0)
	s_barrier
	s_barrier
	ds_read_b128 v[0:3], v87
	v_add_u32_e32 v85, v4, v88
	ds_read_b128 v[4:7], v85 offset:720
	ds_read_b128 v[12:15], v85 offset:1440
	;; [unrolled: 1-line block ×9, first 2 shown]
	s_waitcnt lgkmcnt(6)
	v_add_f64 v[42:43], v[4:5], v[34:35]
	s_waitcnt lgkmcnt(3)
	v_add_f64 v[20:21], v[74:75], v[90:91]
	v_fma_f64 v[44:45], -0.5, v[20:21], v[0:1]
	s_waitcnt lgkmcnt(1)
	v_add_f64 v[20:21], v[12:13], v[8:9]
	v_add_f64 v[68:69], v[0:1], v[12:13]
	v_fmac_f64_e32 v[0:1], -0.5, v[20:21]
	v_add_f64 v[20:21], v[74:75], -v[12:13]
	v_add_f64 v[22:23], v[90:91], -v[8:9]
	v_add_f64 v[94:95], v[20:21], v[22:23]
	v_add_f64 v[20:21], v[76:77], v[92:93]
	v_fma_f64 v[46:47], -0.5, v[20:21], v[2:3]
	v_add_f64 v[20:21], v[14:15], v[10:11]
	v_add_f64 v[96:97], v[2:3], v[14:15]
	v_fmac_f64_e32 v[2:3], -0.5, v[20:21]
	v_add_f64 v[20:21], v[28:29], v[24:25]
	v_fma_f64 v[48:49], -0.5, v[20:21], v[4:5]
	s_waitcnt lgkmcnt(0)
	v_add_f64 v[20:21], v[34:35], v[16:17]
	v_fmac_f64_e32 v[4:5], -0.5, v[20:21]
	v_add_f64 v[20:21], v[28:29], -v[34:35]
	v_add_f64 v[22:23], v[24:25], -v[16:17]
	v_add_f64 v[60:61], v[20:21], v[22:23]
	v_add_f64 v[20:21], v[30:31], v[26:27]
	s_mov_b32 s14, 0x134454ff
	v_fma_f64 v[52:53], -0.5, v[20:21], v[6:7]
	v_add_f64 v[20:21], v[36:37], v[18:19]
	s_mov_b32 s15, 0xbfee6f0e
	s_mov_b32 s10, 0x4755a5e
	;; [unrolled: 1-line block ×4, first 2 shown]
	v_add_f64 v[62:63], v[6:7], v[36:37]
	v_add_f64 v[40:41], v[28:29], -v[24:25]
	v_fmac_f64_e32 v[6:7], -0.5, v[20:21]
	s_mov_b32 s11, 0xbfe2cf23
	s_mov_b32 s4, 0x372fe950
	v_add_f64 v[32:33], v[30:31], -v[26:27]
	v_add_f64 v[56:57], v[34:35], -v[16:17]
	v_fma_f64 v[54:55], s[14:15], v[40:41], v[6:7]
	v_add_f64 v[20:21], v[30:31], -v[36:37]
	v_add_f64 v[22:23], v[26:27], -v[18:19]
	v_fmac_f64_e32 v[6:7], s[12:13], v[40:41]
	v_add_f64 v[78:79], v[76:77], -v[92:93]
	s_mov_b32 s5, 0x3fd3c6ef
	s_mov_b32 s17, 0x3fe2cf23
	;; [unrolled: 1-line block ×3, first 2 shown]
	v_add_f64 v[38:39], v[36:37], -v[18:19]
	v_fma_f64 v[50:51], s[12:13], v[32:33], v[4:5]
	v_fmac_f64_e32 v[4:5], s[14:15], v[32:33]
	v_add_f64 v[58:59], v[20:21], v[22:23]
	v_fmac_f64_e32 v[6:7], s[10:11], v[56:57]
	v_fmac_f64_e32 v[4:5], s[16:17], v[38:39]
	;; [unrolled: 1-line block ×3, first 2 shown]
	s_mov_b32 s19, 0xbfd3c6ef
	s_mov_b32 s18, s4
	v_fma_f64 v[64:65], s[12:13], v[78:79], v[0:1]
	v_fmac_f64_e32 v[0:1], s[14:15], v[78:79]
	v_add_f64 v[100:101], v[14:15], -v[10:11]
	v_fmac_f64_e32 v[4:5], s[4:5], v[60:61]
	v_mul_f64 v[22:23], v[6:7], s[14:15]
	v_mul_f64 v[98:99], v[6:7], s[18:19]
	v_fmac_f64_e32 v[0:1], s[16:17], v[100:101]
	v_fmac_f64_e32 v[22:23], s[18:19], v[4:5]
	;; [unrolled: 1-line block ×3, first 2 shown]
	v_add_f64 v[4:5], v[76:77], -v[14:15]
	v_add_f64 v[6:7], v[92:93], -v[10:11]
	v_fmac_f64_e32 v[0:1], s[4:5], v[94:95]
	v_add_f64 v[20:21], v[74:75], -v[90:91]
	v_add_f64 v[70:71], v[4:5], v[6:7]
	v_fma_f64 v[66:67], s[14:15], v[20:21], v[2:3]
	v_fmac_f64_e32 v[2:3], s[12:13], v[20:21]
	v_add_f64 v[72:73], v[12:13], -v[8:9]
	v_add_f64 v[4:5], v[0:1], v[22:23]
	v_add_f64 v[0:1], v[0:1], -v[22:23]
	v_add_f64 v[12:13], v[12:13], -v[74:75]
	;; [unrolled: 1-line block ×3, first 2 shown]
	v_add_f64 v[14:15], v[68:69], v[74:75]
	v_add_f64 v[68:69], v[8:9], -v[90:91]
	v_fmac_f64_e32 v[50:51], s[10:11], v[38:39]
	v_add_f64 v[62:63], v[62:63], v[30:31]
	v_fmac_f64_e32 v[2:3], s[10:11], v[72:73]
	v_add_f64 v[76:77], v[96:97], v[76:77]
	v_add_f64 v[12:13], v[12:13], v[68:69]
	v_fma_f64 v[68:69], s[14:15], v[100:101], v[44:45]
	v_fmac_f64_e32 v[44:45], s[12:13], v[100:101]
	v_fmac_f64_e32 v[66:67], s[16:17], v[72:73]
	v_add_f64 v[42:43], v[42:43], v[28:29]
	v_fmac_f64_e32 v[50:51], s[4:5], v[60:61]
	v_add_f64 v[60:61], v[62:63], v[26:27]
	v_fmac_f64_e32 v[2:3], s[4:5], v[70:71]
	v_fmac_f64_e32 v[68:69], s[10:11], v[78:79]
	;; [unrolled: 1-line block ×4, first 2 shown]
	v_add_f64 v[78:79], v[76:77], v[92:93]
	v_add_f64 v[76:77], v[10:11], -v[92:93]
	v_fma_f64 v[92:93], s[12:13], v[72:73], v[46:47]
	v_fmac_f64_e32 v[46:47], s[14:15], v[72:73]
	v_fmac_f64_e32 v[66:67], s[4:5], v[70:71]
	v_add_f64 v[34:35], v[34:35], -v[28:29]
	v_add_f64 v[70:71], v[16:17], -v[24:25]
	;; [unrolled: 1-line block ×3, first 2 shown]
	v_add_f64 v[42:43], v[42:43], v[24:25]
	v_add_f64 v[62:63], v[18:19], -v[26:27]
	v_add_f64 v[96:97], v[60:61], v[18:19]
	v_fma_f64 v[60:61], s[12:13], v[56:57], v[52:53]
	v_fmac_f64_e32 v[52:53], s[14:15], v[56:57]
	v_fmac_f64_e32 v[54:55], s[16:17], v[56:57]
	;; [unrolled: 1-line block ×3, first 2 shown]
	v_add_f64 v[34:35], v[34:35], v[70:71]
	v_fma_f64 v[70:71], s[14:15], v[38:39], v[48:49]
	v_fmac_f64_e32 v[48:49], s[12:13], v[38:39]
	v_add_f64 v[94:95], v[42:43], v[16:17]
	v_add_f64 v[42:43], v[72:73], v[62:63]
	v_fmac_f64_e32 v[60:61], s[16:17], v[40:41]
	v_fmac_f64_e32 v[52:53], s[10:11], v[40:41]
	;; [unrolled: 1-line block ×3, first 2 shown]
	s_mov_b32 s20, 0x9b97f4a8
	v_add_f64 v[6:7], v[2:3], v[98:99]
	v_add_f64 v[2:3], v[2:3], -v[98:99]
	v_fmac_f64_e32 v[70:71], s[10:11], v[32:33]
	v_fmac_f64_e32 v[48:49], s[16:17], v[32:33]
	;; [unrolled: 1-line block ×4, first 2 shown]
	s_mov_b32 s21, 0x3fe9e377
	v_mul_f64 v[98:99], v[54:55], s[14:15]
	s_mov_b32 s23, 0xbfe9e377
	s_mov_b32 s22, s20
	v_mul_f64 v[54:55], v[54:55], s[4:5]
	v_add_f64 v[22:23], v[22:23], v[76:77]
	v_fmac_f64_e32 v[46:47], s[10:11], v[20:21]
	v_fmac_f64_e32 v[70:71], s[4:5], v[34:35]
	;; [unrolled: 1-line block ×3, first 2 shown]
	v_mul_f64 v[56:57], v[60:61], s[10:11]
	v_fmac_f64_e32 v[98:99], s[4:5], v[50:51]
	v_mul_f64 v[100:101], v[52:53], s[10:11]
	v_fmac_f64_e32 v[54:55], s[12:13], v[50:51]
	;; [unrolled: 2-line block ×3, first 2 shown]
	v_fmac_f64_e32 v[44:45], s[4:5], v[12:13]
	v_add_f64 v[74:75], v[14:15], v[90:91]
	v_fmac_f64_e32 v[92:93], s[16:17], v[20:21]
	v_fmac_f64_e32 v[46:47], s[4:5], v[22:23]
	;; [unrolled: 1-line block ×5, first 2 shown]
	ds_read_b128 v[12:15], v85 offset:480
	v_add_f64 v[74:75], v[74:75], v[8:9]
	v_add_f64 v[90:91], v[78:79], v[10:11]
	ds_read_b128 v[8:11], v85 offset:1200
	v_fmac_f64_e32 v[92:93], s[4:5], v[22:23]
	ds_read_b128 v[20:23], v85 offset:1920
	ds_read_b128 v[32:35], v85 offset:2640
	;; [unrolled: 1-line block ×7, first 2 shown]
	v_mul_f64 v[58:59], v[70:71], s[16:17]
	v_add_f64 v[72:73], v[68:69], v[56:57]
	v_add_f64 v[56:57], v[68:69], -v[56:57]
	v_add_f64 v[68:69], v[64:65], v[98:99]
	v_add_f64 v[70:71], v[66:67], v[54:55]
	v_add_f64 v[52:53], v[64:65], -v[98:99]
	v_add_f64 v[54:55], v[66:67], -v[54:55]
	v_add_f64 v[64:65], v[44:45], v[100:101]
	v_add_f64 v[66:67], v[46:47], v[50:51]
	v_add_f64 v[48:49], v[44:45], -v[100:101]
	v_add_f64 v[50:51], v[46:47], -v[50:51]
	ds_read_b128 v[44:47], v85 offset:6960
	v_add_f64 v[78:79], v[90:91], v[96:97]
	v_add_f64 v[62:63], v[90:91], -v[96:97]
	v_mul_u32_u24_e32 v90, 10, v84
	v_lshl_add_u32 v90, v90, 4, 0
	v_fmac_f64_e32 v[58:59], s[20:21], v[60:61]
	v_add_f64 v[76:77], v[74:75], v[94:95]
	v_add_u32_e32 v91, v90, v88
	v_add_f64 v[60:61], v[74:75], -v[94:95]
	v_add_f64 v[74:75], v[92:93], v[58:59]
	v_add_f64 v[58:59], v[92:93], -v[58:59]
	s_waitcnt lgkmcnt(0)
	s_barrier
	ds_write_b128 v91, v[76:79]
	ds_write_b128 v91, v[72:75] offset:16
	ds_write_b128 v91, v[68:71] offset:32
	;; [unrolled: 1-line block ×9, first 2 shown]
	s_and_saveexec_b64 s[24:25], vcc
	s_cbranch_execz .LBB0_23
; %bb.22:
	v_add_f64 v[0:1], v[22:23], -v[38:39]
	v_add_f64 v[2:3], v[42:43], -v[26:27]
	v_add_f64 v[0:1], v[0:1], v[2:3]
	v_add_f64 v[2:3], v[38:39], v[26:27]
	v_fma_f64 v[54:55], -0.5, v[2:3], v[14:15]
	v_add_f64 v[2:3], v[32:33], -v[28:29]
	v_add_f64 v[6:7], v[44:45], -v[16:17]
	v_add_f64 v[52:53], v[2:3], v[6:7]
	v_add_f64 v[2:3], v[28:29], v[16:17]
	v_add_f64 v[4:5], v[20:21], -v[40:41]
	v_fma_f64 v[58:59], -0.5, v[2:3], v[8:9]
	v_add_f64 v[2:3], v[34:35], -v[30:31]
	v_add_f64 v[6:7], v[46:47], -v[18:19]
	v_fma_f64 v[56:57], s[14:15], v[4:5], v[54:55]
	v_add_f64 v[50:51], v[36:37], -v[24:25]
	v_add_f64 v[66:67], v[2:3], v[6:7]
	v_add_f64 v[6:7], v[38:39], -v[22:23]
	v_add_f64 v[48:49], v[26:27], -v[42:43]
	v_fmac_f64_e32 v[54:55], s[12:13], v[4:5]
	v_fmac_f64_e32 v[56:57], s[10:11], v[50:51]
	v_add_f64 v[48:49], v[6:7], v[48:49]
	v_add_f64 v[6:7], v[22:23], v[42:43]
	v_fmac_f64_e32 v[54:55], s[16:17], v[50:51]
	v_fmac_f64_e32 v[56:57], s[4:5], v[0:1]
	v_fma_f64 v[78:79], -0.5, v[6:7], v[14:15]
	v_add_f64 v[6:7], v[28:29], -v[32:33]
	v_add_f64 v[94:95], v[16:17], -v[44:45]
	v_fmac_f64_e32 v[54:55], s[4:5], v[0:1]
	v_add_f64 v[0:1], v[14:15], v[22:23]
	v_add_f64 v[60:61], v[34:35], -v[46:47]
	v_add_f64 v[94:95], v[6:7], v[94:95]
	v_add_f64 v[6:7], v[32:33], v[44:45]
	;; [unrolled: 1-line block ×3, first 2 shown]
	v_fma_f64 v[62:63], s[12:13], v[60:61], v[58:59]
	v_add_f64 v[64:65], v[30:31], -v[18:19]
	v_fma_f64 v[96:97], -0.5, v[6:7], v[8:9]
	v_fmac_f64_e32 v[58:59], s[14:15], v[60:61]
	v_add_f64 v[0:1], v[0:1], v[26:27]
	v_fmac_f64_e32 v[62:63], s[16:17], v[64:65]
	v_add_f64 v[2:3], v[30:31], v[18:19]
	v_fma_f64 v[98:99], s[14:15], v[64:65], v[96:97]
	v_fmac_f64_e32 v[96:97], s[12:13], v[64:65]
	v_fmac_f64_e32 v[58:59], s[10:11], v[64:65]
	v_add_f64 v[64:65], v[0:1], v[42:43]
	v_add_f64 v[0:1], v[10:11], v[34:35]
	v_fma_f64 v[68:69], -0.5, v[2:3], v[10:11]
	v_add_f64 v[70:71], v[32:33], -v[44:45]
	v_add_f64 v[0:1], v[0:1], v[30:31]
	v_fma_f64 v[72:73], s[14:15], v[70:71], v[68:69]
	v_add_f64 v[74:75], v[28:29], -v[16:17]
	v_fma_f64 v[92:93], s[12:13], v[50:51], v[78:79]
	v_fmac_f64_e32 v[78:79], s[14:15], v[50:51]
	v_add_f64 v[0:1], v[0:1], v[18:19]
	v_fmac_f64_e32 v[72:73], s[10:11], v[74:75]
	v_fmac_f64_e32 v[92:93], s[10:11], v[4:5]
	v_add_f64 v[6:7], v[30:31], -v[34:35]
	v_add_f64 v[100:101], v[18:19], -v[46:47]
	v_fmac_f64_e32 v[78:79], s[16:17], v[4:5]
	v_add_f64 v[30:31], v[0:1], v[46:47]
	v_add_f64 v[0:1], v[20:21], -v[36:37]
	v_add_f64 v[4:5], v[40:41], -v[24:25]
	v_fmac_f64_e32 v[72:73], s[4:5], v[66:67]
	v_add_f64 v[100:101], v[6:7], v[100:101]
	v_add_f64 v[6:7], v[34:35], v[46:47]
	;; [unrolled: 1-line block ×3, first 2 shown]
	v_add_f64 v[18:19], v[22:23], -v[42:43]
	v_add_f64 v[22:23], v[38:39], -v[26:27]
	;; [unrolled: 1-line block ×4, first 2 shown]
	v_fmac_f64_e32 v[62:63], s[4:5], v[52:53]
	v_mul_f64 v[76:77], v[72:73], s[22:23]
	v_fma_f64 v[102:103], -0.5, v[6:7], v[10:11]
	v_add_f64 v[0:1], v[36:37], v[24:25]
	v_mul_f64 v[38:39], v[72:73], s[10:11]
	v_add_f64 v[26:27], v[4:5], v[26:27]
	v_add_f64 v[4:5], v[20:21], v[40:41]
	v_fmac_f64_e32 v[76:77], s[16:17], v[62:63]
	v_fma_f64 v[104:105], s[12:13], v[74:75], v[102:103]
	v_fmac_f64_e32 v[102:103], s[14:15], v[74:75]
	v_fmac_f64_e32 v[68:69], s[12:13], v[70:71]
	v_fma_f64 v[34:35], -0.5, v[0:1], v[12:13]
	v_fmac_f64_e32 v[38:39], s[22:23], v[62:63]
	v_fma_f64 v[62:63], -0.5, v[4:5], v[12:13]
	v_add_f64 v[12:13], v[12:13], v[20:21]
	v_add_f64 v[8:9], v[8:9], v[32:33]
	v_fmac_f64_e32 v[104:105], s[10:11], v[70:71]
	v_fmac_f64_e32 v[102:103], s[16:17], v[70:71]
	v_fmac_f64_e32 v[58:59], s[4:5], v[52:53]
	v_fmac_f64_e32 v[68:69], s[16:17], v[74:75]
	v_add_f64 v[12:13], v[12:13], v[36:37]
	v_add_f64 v[8:9], v[8:9], v[28:29]
	v_fmac_f64_e32 v[98:99], s[16:17], v[60:61]
	v_fmac_f64_e32 v[104:105], s[4:5], v[100:101]
	;; [unrolled: 1-line block ×4, first 2 shown]
	v_mul_f64 v[60:61], v[58:59], s[16:17]
	v_fmac_f64_e32 v[68:69], s[4:5], v[66:67]
	v_fma_f64 v[42:43], s[12:13], v[18:19], v[34:35]
	v_fma_f64 v[66:67], s[14:15], v[22:23], v[62:63]
	v_fmac_f64_e32 v[62:63], s[12:13], v[22:23]
	v_fmac_f64_e32 v[34:35], s[14:15], v[18:19]
	v_add_f64 v[12:13], v[12:13], v[24:25]
	v_add_f64 v[8:9], v[8:9], v[16:17]
	v_fmac_f64_e32 v[98:99], s[4:5], v[94:95]
	v_mul_f64 v[106:107], v[104:105], s[18:19]
	v_fmac_f64_e32 v[96:97], s[4:5], v[94:95]
	v_mul_f64 v[94:95], v[102:103], s[4:5]
	v_fmac_f64_e32 v[60:61], s[20:21], v[68:69]
	v_fmac_f64_e32 v[42:43], s[16:17], v[22:23]
	;; [unrolled: 1-line block ×3, first 2 shown]
	v_mul_f64 v[70:71], v[104:105], s[14:15]
	v_fmac_f64_e32 v[62:63], s[10:11], v[18:19]
	v_mul_f64 v[72:73], v[102:103], s[14:15]
	v_fmac_f64_e32 v[34:35], s[10:11], v[22:23]
	v_mul_f64 v[68:69], v[68:69], s[10:11]
	v_add_f64 v[36:37], v[12:13], v[40:41]
	v_add_f64 v[28:29], v[8:9], v[44:45]
	v_fmac_f64_e32 v[92:93], s[4:5], v[48:49]
	v_fmac_f64_e32 v[106:107], s[12:13], v[98:99]
	;; [unrolled: 1-line block ×4, first 2 shown]
	v_add_f64 v[10:11], v[64:65], -v[30:31]
	v_fmac_f64_e32 v[42:43], s[4:5], v[14:15]
	v_fmac_f64_e32 v[66:67], s[4:5], v[26:27]
	;; [unrolled: 1-line block ×7, first 2 shown]
	v_add_f64 v[8:9], v[36:37], -v[28:29]
	v_add_f64 v[30:31], v[64:65], v[30:31]
	v_add_f64 v[28:29], v[36:37], v[28:29]
	v_lshl_add_u32 v32, v89, 4, v90
	v_add_f64 v[2:3], v[56:57], -v[76:77]
	v_add_f64 v[6:7], v[92:93], -v[106:107]
	v_add_f64 v[48:49], v[78:79], -v[94:95]
	v_add_f64 v[52:53], v[54:55], -v[60:61]
	v_add_f64 v[0:1], v[42:43], -v[38:39]
	v_add_f64 v[4:5], v[66:67], -v[70:71]
	v_add_f64 v[46:47], v[62:63], -v[72:73]
	v_add_f64 v[50:51], v[34:35], -v[68:69]
	v_add_f64 v[14:15], v[56:57], v[76:77]
	v_add_f64 v[18:19], v[92:93], v[106:107]
	;; [unrolled: 1-line block ×8, first 2 shown]
	ds_write_b128 v32, v[28:31] offset:4800
	ds_write_b128 v32, v[24:27] offset:4816
	;; [unrolled: 1-line block ×10, first 2 shown]
.LBB0_23:
	s_or_b64 exec, exec, s[24:25]
	s_movk_i32 s18, 0xcd
	v_mul_lo_u16_sdwa v0, v84, s18 dst_sel:DWORD dst_unused:UNUSED_PAD src0_sel:BYTE_0 src1_sel:DWORD
	v_lshrrev_b16_e32 v46, 11, v0
	v_mul_lo_u16_e32 v0, 10, v46
	v_sub_u16_e32 v47, v84, v0
	v_mov_b32_e32 v0, 6
	v_lshlrev_b32_sdwa v1, v0, v47 dst_sel:DWORD dst_unused:UNUSED_PAD src0_sel:DWORD src1_sel:BYTE_0
	v_add_u32_e32 v44, 30, v84
	s_waitcnt lgkmcnt(0)
	s_barrier
	global_load_dwordx4 v[12:15], v1, s[8:9]
	global_load_dwordx4 v[16:19], v1, s[8:9] offset:16
	global_load_dwordx4 v[20:23], v1, s[8:9] offset:48
	;; [unrolled: 1-line block ×3, first 2 shown]
	v_mul_lo_u16_sdwa v1, v44, s18 dst_sel:DWORD dst_unused:UNUSED_PAD src0_sel:BYTE_0 src1_sel:DWORD
	v_lshrrev_b16_e32 v89, 11, v1
	v_mul_lo_u16_e32 v1, 10, v89
	v_sub_u16_e32 v124, v44, v1
	v_lshlrev_b32_sdwa v1, v0, v124 dst_sel:DWORD dst_unused:UNUSED_PAD src0_sel:DWORD src1_sel:BYTE_0
	v_add_u32_e32 v45, 60, v84
	global_load_dwordx4 v[28:31], v1, s[8:9]
	global_load_dwordx4 v[32:35], v1, s[8:9] offset:16
	global_load_dwordx4 v[36:39], v1, s[8:9] offset:48
	;; [unrolled: 1-line block ×3, first 2 shown]
	v_mul_lo_u16_sdwa v1, v45, s18 dst_sel:DWORD dst_unused:UNUSED_PAD src0_sel:BYTE_0 src1_sel:DWORD
	v_lshrrev_b16_e32 v125, 11, v1
	v_mul_lo_u16_e32 v1, 10, v125
	v_sub_u16_e32 v126, v45, v1
	v_lshlrev_b32_sdwa v0, v0, v126 dst_sel:DWORD dst_unused:UNUSED_PAD src0_sel:DWORD src1_sel:BYTE_0
	global_load_dwordx4 v[48:51], v0, s[8:9]
	global_load_dwordx4 v[52:55], v0, s[8:9] offset:16
	global_load_dwordx4 v[56:59], v0, s[8:9] offset:32
	;; [unrolled: 1-line block ×3, first 2 shown]
	ds_read_b128 v[8:11], v87
	ds_read_b128 v[4:7], v85 offset:480
	ds_read_b128 v[64:67], v85 offset:2880
	;; [unrolled: 1-line block ×13, first 2 shown]
	v_cmp_gt_u32_e32 vcc, 20, v84
	s_waitcnt vmcnt(11) lgkmcnt(7)
	v_mul_f64 v[118:119], v[92:93], v[14:15]
	v_mul_f64 v[14:15], v[90:91], v[14:15]
	v_fmac_f64_e32 v[118:119], v[90:91], v[12:13]
	v_fma_f64 v[90:91], v[92:93], v[12:13], -v[14:15]
	ds_read_b128 v[12:15], v85 offset:6720
	s_waitcnt vmcnt(10)
	v_mul_f64 v[92:93], v[66:67], v[18:19]
	v_mul_f64 v[18:19], v[64:65], v[18:19]
	s_waitcnt vmcnt(8) lgkmcnt(4)
	v_mul_f64 v[120:121], v[104:105], v[26:27]
	v_fmac_f64_e32 v[92:93], v[64:65], v[16:17]
	v_fma_f64 v[64:65], v[66:67], v[16:17], -v[18:19]
	v_mul_f64 v[16:17], v[102:103], v[26:27]
	v_mul_f64 v[26:27], v[74:75], v[22:23]
	;; [unrolled: 1-line block ×3, first 2 shown]
	s_waitcnt vmcnt(4) lgkmcnt(2)
	v_mul_f64 v[122:123], v[112:113], v[42:43]
	v_fmac_f64_e32 v[26:27], v[72:73], v[20:21]
	v_fma_f64 v[72:73], v[74:75], v[20:21], -v[18:19]
	v_mul_f64 v[18:19], v[110:111], v[42:43]
	s_waitcnt vmcnt(0) lgkmcnt(0)
	v_mul_f64 v[42:43], v[14:15], v[62:63]
	v_mul_f64 v[74:75], v[78:79], v[38:39]
	v_mul_f64 v[20:21], v[76:77], v[38:39]
	v_fmac_f64_e32 v[42:43], v[12:13], v[60:61]
	v_mul_f64 v[12:13], v[12:13], v[62:63]
	v_mul_f64 v[66:67], v[96:97], v[30:31]
	v_fmac_f64_e32 v[120:121], v[102:103], v[24:25]
	v_fma_f64 v[102:103], v[104:105], v[24:25], -v[16:17]
	v_mul_f64 v[16:17], v[94:95], v[30:31]
	v_fmac_f64_e32 v[74:75], v[76:77], v[36:37]
	v_fma_f64 v[76:77], v[78:79], v[36:37], -v[20:21]
	v_fma_f64 v[36:37], v[14:15], v[60:61], -v[12:13]
	v_add_f64 v[12:13], v[8:9], v[118:119]
	v_fmac_f64_e32 v[66:67], v[94:95], v[28:29]
	v_fma_f64 v[94:95], v[96:97], v[28:29], -v[16:17]
	v_mul_f64 v[16:17], v[98:99], v[50:51]
	v_add_f64 v[12:13], v[12:13], v[92:93]
	v_mul_f64 v[104:105], v[70:71], v[34:35]
	v_mul_f64 v[22:23], v[68:69], v[34:35]
	v_fma_f64 v[28:29], v[100:101], v[48:49], -v[16:17]
	v_mul_f64 v[16:17], v[114:115], v[58:59]
	v_add_f64 v[12:13], v[12:13], v[120:121]
	v_fmac_f64_e32 v[104:105], v[68:69], v[32:33]
	v_fma_f64 v[68:69], v[70:71], v[32:33], -v[22:23]
	v_fma_f64 v[32:33], v[116:117], v[56:57], -v[16:17]
	v_add_f64 v[16:17], v[12:13], v[26:27]
	v_add_f64 v[12:13], v[92:93], v[120:121]
	v_mul_f64 v[24:25], v[106:107], v[54:55]
	v_fma_f64 v[12:13], -0.5, v[12:13], v[8:9]
	v_add_f64 v[14:15], v[90:91], -v[72:73]
	v_fma_f64 v[70:71], v[112:113], v[40:41], -v[18:19]
	v_fma_f64 v[30:31], v[108:109], v[52:53], -v[24:25]
	v_fma_f64 v[20:21], s[14:15], v[14:15], v[12:13]
	v_add_f64 v[18:19], v[64:65], -v[102:103]
	v_add_f64 v[22:23], v[118:119], -v[92:93]
	;; [unrolled: 1-line block ×3, first 2 shown]
	v_fmac_f64_e32 v[12:13], s[12:13], v[14:15]
	v_fmac_f64_e32 v[20:21], s[10:11], v[18:19]
	v_add_f64 v[22:23], v[22:23], v[24:25]
	v_fmac_f64_e32 v[12:13], s[16:17], v[18:19]
	v_fmac_f64_e32 v[20:21], s[4:5], v[22:23]
	;; [unrolled: 1-line block ×3, first 2 shown]
	v_add_f64 v[22:23], v[118:119], v[26:27]
	v_fmac_f64_e32 v[8:9], -0.5, v[22:23]
	v_fma_f64 v[24:25], s[12:13], v[18:19], v[8:9]
	v_fmac_f64_e32 v[8:9], s[14:15], v[18:19]
	v_fmac_f64_e32 v[24:25], s[10:11], v[14:15]
	;; [unrolled: 1-line block ×3, first 2 shown]
	v_add_f64 v[14:15], v[10:11], v[90:91]
	v_add_f64 v[14:15], v[14:15], v[64:65]
	v_mul_f64 v[34:35], v[100:101], v[50:51]
	v_add_f64 v[14:15], v[14:15], v[102:103]
	v_fmac_f64_e32 v[34:35], v[98:99], v[48:49]
	v_add_f64 v[22:23], v[92:93], -v[118:119]
	v_add_f64 v[48:49], v[120:121], -v[26:27]
	v_add_f64 v[18:19], v[14:15], v[72:73]
	v_add_f64 v[14:15], v[64:65], v[102:103]
	v_mul_f64 v[38:39], v[108:109], v[54:55]
	v_add_f64 v[22:23], v[22:23], v[48:49]
	v_fma_f64 v[14:15], -0.5, v[14:15], v[10:11]
	v_add_f64 v[48:49], v[118:119], -v[26:27]
	v_fmac_f64_e32 v[38:39], v[106:107], v[52:53]
	v_fmac_f64_e32 v[24:25], s[4:5], v[22:23]
	;; [unrolled: 1-line block ×3, first 2 shown]
	v_fma_f64 v[22:23], s[12:13], v[48:49], v[14:15]
	v_add_f64 v[50:51], v[92:93], -v[120:121]
	v_add_f64 v[26:27], v[90:91], -v[64:65]
	;; [unrolled: 1-line block ×3, first 2 shown]
	v_fmac_f64_e32 v[14:15], s[14:15], v[48:49]
	v_fmac_f64_e32 v[22:23], s[16:17], v[50:51]
	v_add_f64 v[26:27], v[26:27], v[52:53]
	v_fmac_f64_e32 v[14:15], s[10:11], v[50:51]
	v_fmac_f64_e32 v[22:23], s[4:5], v[26:27]
	;; [unrolled: 1-line block ×3, first 2 shown]
	v_add_f64 v[26:27], v[90:91], v[72:73]
	v_fmac_f64_e32 v[10:11], -0.5, v[26:27]
	v_fmac_f64_e32 v[122:123], v[110:111], v[40:41]
	v_fma_f64 v[26:27], s[14:15], v[50:51], v[10:11]
	v_add_f64 v[52:53], v[64:65], -v[90:91]
	v_add_f64 v[54:55], v[102:103], -v[72:73]
	v_fmac_f64_e32 v[10:11], s[12:13], v[50:51]
	v_fmac_f64_e32 v[26:27], s[16:17], v[48:49]
	v_add_f64 v[52:53], v[52:53], v[54:55]
	v_fmac_f64_e32 v[10:11], s[10:11], v[48:49]
	v_add_f64 v[50:51], v[104:105], v[122:123]
	v_mul_f64 v[40:41], v[116:117], v[58:59]
	v_fmac_f64_e32 v[26:27], s[4:5], v[52:53]
	v_fmac_f64_e32 v[10:11], s[4:5], v[52:53]
	v_fma_f64 v[52:53], -0.5, v[50:51], v[4:5]
	v_add_f64 v[50:51], v[94:95], -v[76:77]
	v_fmac_f64_e32 v[40:41], v[114:115], v[56:57]
	v_fma_f64 v[56:57], s[14:15], v[50:51], v[52:53]
	v_add_f64 v[54:55], v[68:69], -v[70:71]
	v_add_f64 v[58:59], v[66:67], -v[104:105]
	;; [unrolled: 1-line block ×3, first 2 shown]
	v_fmac_f64_e32 v[52:53], s[12:13], v[50:51]
	v_fmac_f64_e32 v[56:57], s[10:11], v[54:55]
	v_add_f64 v[58:59], v[58:59], v[60:61]
	v_fmac_f64_e32 v[52:53], s[16:17], v[54:55]
	v_fmac_f64_e32 v[56:57], s[4:5], v[58:59]
	;; [unrolled: 1-line block ×3, first 2 shown]
	v_add_f64 v[58:59], v[66:67], v[74:75]
	v_add_f64 v[48:49], v[4:5], v[66:67]
	v_fmac_f64_e32 v[4:5], -0.5, v[58:59]
	v_fma_f64 v[60:61], s[12:13], v[54:55], v[4:5]
	v_add_f64 v[58:59], v[104:105], -v[66:67]
	v_add_f64 v[62:63], v[122:123], -v[74:75]
	v_fmac_f64_e32 v[4:5], s[14:15], v[54:55]
	v_add_f64 v[54:55], v[68:69], v[70:71]
	v_fmac_f64_e32 v[60:61], s[10:11], v[50:51]
	v_add_f64 v[58:59], v[58:59], v[62:63]
	v_fmac_f64_e32 v[4:5], s[16:17], v[50:51]
	v_fma_f64 v[54:55], -0.5, v[54:55], v[6:7]
	v_add_f64 v[64:65], v[66:67], -v[74:75]
	v_fmac_f64_e32 v[60:61], s[4:5], v[58:59]
	v_fmac_f64_e32 v[4:5], s[4:5], v[58:59]
	v_fma_f64 v[58:59], s[12:13], v[64:65], v[54:55]
	v_add_f64 v[66:67], v[104:105], -v[122:123]
	v_add_f64 v[62:63], v[94:95], -v[68:69]
	;; [unrolled: 1-line block ×3, first 2 shown]
	v_fmac_f64_e32 v[54:55], s[14:15], v[64:65]
	v_fmac_f64_e32 v[58:59], s[16:17], v[66:67]
	v_add_f64 v[62:63], v[62:63], v[72:73]
	v_fmac_f64_e32 v[54:55], s[10:11], v[66:67]
	v_add_f64 v[50:51], v[6:7], v[94:95]
	v_fmac_f64_e32 v[58:59], s[4:5], v[62:63]
	v_fmac_f64_e32 v[54:55], s[4:5], v[62:63]
	v_add_f64 v[62:63], v[94:95], v[76:77]
	v_add_f64 v[50:51], v[50:51], v[68:69]
	v_fmac_f64_e32 v[6:7], -0.5, v[62:63]
	v_add_f64 v[50:51], v[50:51], v[70:71]
	v_fma_f64 v[62:63], s[14:15], v[66:67], v[6:7]
	v_add_f64 v[68:69], v[68:69], -v[94:95]
	v_add_f64 v[70:71], v[70:71], -v[76:77]
	v_fmac_f64_e32 v[6:7], s[12:13], v[66:67]
	v_add_f64 v[48:49], v[48:49], v[104:105]
	v_fmac_f64_e32 v[62:63], s[16:17], v[64:65]
	v_add_f64 v[68:69], v[68:69], v[70:71]
	;; [unrolled: 2-line block ×3, first 2 shown]
	v_add_f64 v[48:49], v[48:49], v[122:123]
	v_fmac_f64_e32 v[62:63], s[4:5], v[68:69]
	v_fmac_f64_e32 v[6:7], s[4:5], v[68:69]
	v_fma_f64 v[68:69], -0.5, v[66:67], v[0:1]
	v_add_f64 v[66:67], v[28:29], -v[36:37]
	v_add_f64 v[48:49], v[48:49], v[74:75]
	v_add_f64 v[50:51], v[50:51], v[76:77]
	v_fma_f64 v[72:73], s[14:15], v[66:67], v[68:69]
	v_add_f64 v[70:71], v[30:31], -v[32:33]
	v_add_f64 v[74:75], v[34:35], -v[38:39]
	;; [unrolled: 1-line block ×3, first 2 shown]
	v_fmac_f64_e32 v[68:69], s[12:13], v[66:67]
	v_fmac_f64_e32 v[72:73], s[10:11], v[70:71]
	v_add_f64 v[74:75], v[74:75], v[76:77]
	v_fmac_f64_e32 v[68:69], s[16:17], v[70:71]
	v_fmac_f64_e32 v[72:73], s[4:5], v[74:75]
	;; [unrolled: 1-line block ×3, first 2 shown]
	v_add_f64 v[74:75], v[34:35], v[42:43]
	v_add_f64 v[64:65], v[0:1], v[34:35]
	v_fmac_f64_e32 v[0:1], -0.5, v[74:75]
	v_add_f64 v[64:65], v[64:65], v[38:39]
	v_fma_f64 v[76:77], s[12:13], v[70:71], v[0:1]
	v_add_f64 v[74:75], v[38:39], -v[34:35]
	v_add_f64 v[78:79], v[40:41], -v[42:43]
	v_fmac_f64_e32 v[0:1], s[14:15], v[70:71]
	v_add_f64 v[70:71], v[30:31], v[32:33]
	v_add_f64 v[64:65], v[64:65], v[40:41]
	v_fmac_f64_e32 v[76:77], s[10:11], v[66:67]
	v_add_f64 v[74:75], v[74:75], v[78:79]
	v_fmac_f64_e32 v[0:1], s[16:17], v[66:67]
	v_fma_f64 v[70:71], -0.5, v[70:71], v[2:3]
	v_add_f64 v[34:35], v[34:35], -v[42:43]
	v_add_f64 v[64:65], v[64:65], v[42:43]
	v_fmac_f64_e32 v[76:77], s[4:5], v[74:75]
	v_fmac_f64_e32 v[0:1], s[4:5], v[74:75]
	v_fma_f64 v[74:75], s[12:13], v[34:35], v[70:71]
	v_add_f64 v[38:39], v[38:39], -v[40:41]
	v_add_f64 v[40:41], v[28:29], -v[30:31]
	;; [unrolled: 1-line block ×3, first 2 shown]
	v_fmac_f64_e32 v[70:71], s[14:15], v[34:35]
	v_fmac_f64_e32 v[74:75], s[16:17], v[38:39]
	v_add_f64 v[40:41], v[40:41], v[42:43]
	v_fmac_f64_e32 v[70:71], s[10:11], v[38:39]
	v_fmac_f64_e32 v[74:75], s[4:5], v[40:41]
	;; [unrolled: 1-line block ×3, first 2 shown]
	v_add_f64 v[40:41], v[28:29], v[36:37]
	v_add_f64 v[66:67], v[2:3], v[28:29]
	v_fmac_f64_e32 v[2:3], -0.5, v[40:41]
	v_add_f64 v[66:67], v[66:67], v[30:31]
	v_fma_f64 v[78:79], s[14:15], v[38:39], v[2:3]
	v_add_f64 v[28:29], v[30:31], -v[28:29]
	v_add_f64 v[30:31], v[32:33], -v[36:37]
	v_fmac_f64_e32 v[2:3], s[12:13], v[38:39]
	v_fmac_f64_e32 v[78:79], s[16:17], v[34:35]
	v_add_f64 v[28:29], v[28:29], v[30:31]
	v_fmac_f64_e32 v[2:3], s[10:11], v[34:35]
	v_fmac_f64_e32 v[78:79], s[4:5], v[28:29]
	;; [unrolled: 1-line block ×3, first 2 shown]
	s_movk_i32 s4, 0x320
	v_mov_b32_e32 v28, 4
	v_mad_u32_u24 v29, v46, s4, 0
	v_lshlrev_b32_sdwa v30, v28, v47 dst_sel:DWORD dst_unused:UNUSED_PAD src0_sel:DWORD src1_sel:BYTE_0
	v_add3_u32 v29, v29, v30, v88
	s_barrier
	ds_write_b128 v29, v[16:19]
	ds_write_b128 v29, v[20:23] offset:160
	ds_write_b128 v29, v[24:27] offset:320
	;; [unrolled: 1-line block ×4, first 2 shown]
	v_mad_u32_u24 v8, v89, s4, 0
	v_lshlrev_b32_sdwa v9, v28, v124 dst_sel:DWORD dst_unused:UNUSED_PAD src0_sel:DWORD src1_sel:BYTE_0
	v_add3_u32 v8, v8, v9, v88
	v_add_f64 v[66:67], v[66:67], v[32:33]
	ds_write_b128 v8, v[48:51]
	ds_write_b128 v8, v[56:59] offset:160
	ds_write_b128 v8, v[60:63] offset:320
	;; [unrolled: 1-line block ×4, first 2 shown]
	v_mad_u32_u24 v4, v125, s4, 0
	v_lshlrev_b32_sdwa v5, v28, v126 dst_sel:DWORD dst_unused:UNUSED_PAD src0_sel:DWORD src1_sel:BYTE_0
	v_add_f64 v[66:67], v[66:67], v[36:37]
	v_add3_u32 v4, v4, v5, v88
	ds_write_b128 v4, v[64:67]
	ds_write_b128 v4, v[72:75] offset:160
	ds_write_b128 v4, v[76:79] offset:320
	ds_write_b128 v4, v[0:3] offset:480
	ds_write_b128 v4, v[68:71] offset:640
	v_subrev_u32_e32 v0, 20, v84
	v_mov_b32_e32 v17, 0
	v_cndmask_b32_e32 v29, v0, v44, vcc
	v_lshlrev_b32_e32 v16, 1, v84
	v_lshlrev_b32_e32 v0, 1, v29
	v_mov_b32_e32 v1, v17
	v_lshl_add_u64 v[18:19], v[16:17], 4, s[8:9]
	v_lshl_add_u64 v[0:1], v[0:1], 4, s[8:9]
	v_add_u32_e32 v16, 20, v16
	s_waitcnt lgkmcnt(0)
	s_barrier
	global_load_dwordx4 v[22:25], v[18:19], off offset:640
	global_load_dwordx4 v[30:33], v[18:19], off offset:656
	;; [unrolled: 1-line block ×4, first 2 shown]
	v_lshl_add_u64 v[0:1], v[16:17], 4, s[8:9]
	v_add_u32_e32 v20, 0x5a, v84
	global_load_dwordx4 v[46:49], v[0:1], off offset:656
	global_load_dwordx4 v[50:53], v[0:1], off offset:640
	v_mov_b32_e32 v0, 41
	v_mul_lo_u16_sdwa v1, v20, v0 dst_sel:DWORD dst_unused:UNUSED_PAD src0_sel:BYTE_0 src1_sel:DWORD
	v_lshrrev_b16_e32 v16, 11, v1
	v_add_u32_e32 v21, 0x78, v84
	v_mul_lo_u16_e32 v1, 50, v16
	v_mul_lo_u16_sdwa v0, v21, v0 dst_sel:DWORD dst_unused:UNUSED_PAD src0_sel:BYTE_0 src1_sel:DWORD
	v_sub_u16_e32 v89, v20, v1
	v_mov_b32_e32 v1, 5
	v_lshrrev_b16_e32 v0, 11, v0
	v_lshlrev_b32_sdwa v2, v1, v89 dst_sel:DWORD dst_unused:UNUSED_PAD src0_sel:DWORD src1_sel:BYTE_0
	v_mul_lo_u16_e32 v0, 50, v0
	global_load_dwordx4 v[54:57], v2, s[8:9] offset:640
	global_load_dwordx4 v[58:61], v2, s[8:9] offset:656
	v_sub_u16_e32 v126, v21, v0
	v_lshlrev_b32_sdwa v0, v1, v126 dst_sel:DWORD dst_unused:UNUSED_PAD src0_sel:DWORD src1_sel:BYTE_0
	global_load_dwordx4 v[62:65], v0, s[8:9] offset:640
	global_load_dwordx4 v[66:69], v0, s[8:9] offset:656
	ds_read_b128 v[70:73], v87
	ds_read_b128 v[12:15], v85 offset:480
	ds_read_b128 v[74:77], v85 offset:4800
	;; [unrolled: 1-line block ×14, first 2 shown]
	s_mov_b32 s4, 0xe8584caa
	s_mov_b32 s5, 0xbfebb67a
	;; [unrolled: 1-line block ×4, first 2 shown]
	s_waitcnt lgkmcnt(0)
	s_barrier
	v_cmp_lt_u32_e32 vcc, 19, v84
	s_movk_i32 s12, 0x960
	s_waitcnt vmcnt(9)
	v_mul_f64 v[26:27], v[112:113], v[24:25]
	v_mul_f64 v[24:25], v[110:111], v[24:25]
	v_fmac_f64_e32 v[26:27], v[110:111], v[22:23]
	v_fma_f64 v[42:43], v[112:113], v[22:23], -v[24:25]
	s_waitcnt vmcnt(8)
	v_mul_f64 v[22:23], v[74:75], v[32:33]
	v_mul_f64 v[78:79], v[76:77], v[32:33]
	v_fma_f64 v[32:33], v[76:77], v[30:31], -v[22:23]
	s_waitcnt vmcnt(7)
	v_mul_f64 v[22:23], v[94:95], v[36:37]
	v_fmac_f64_e32 v[78:79], v[74:75], v[30:31]
	v_mul_f64 v[74:75], v[96:97], v[36:37]
	v_fma_f64 v[76:77], v[96:97], v[34:35], -v[22:23]
	s_waitcnt vmcnt(6)
	v_mul_f64 v[22:23], v[90:91], v[40:41]
	v_fmac_f64_e32 v[74:75], v[94:95], v[34:35]
	v_mul_f64 v[94:95], v[92:93], v[40:41]
	v_fma_f64 v[40:41], v[92:93], v[38:39], -v[22:23]
	s_waitcnt vmcnt(4)
	v_mul_f64 v[22:23], v[98:99], v[52:53]
	v_fmac_f64_e32 v[94:95], v[90:91], v[38:39]
	v_mul_f64 v[90:91], v[100:101], v[52:53]
	v_fma_f64 v[52:53], v[100:101], v[50:51], -v[22:23]
	v_mul_f64 v[22:23], v[102:103], v[48:49]
	v_fma_f64 v[96:97], v[104:105], v[46:47], -v[22:23]
	s_waitcnt vmcnt(3)
	v_mul_f64 v[22:23], v[114:115], v[56:57]
	v_mul_f64 v[92:93], v[104:105], v[48:49]
	v_fma_f64 v[100:101], v[116:117], v[54:55], -v[22:23]
	s_waitcnt vmcnt(2)
	v_mul_f64 v[22:23], v[106:107], v[60:61]
	v_fmac_f64_e32 v[92:93], v[102:103], v[46:47]
	v_mul_f64 v[102:103], v[108:109], v[60:61]
	v_fma_f64 v[60:61], v[108:109], v[58:59], -v[22:23]
	s_waitcnt vmcnt(1)
	v_mul_f64 v[22:23], v[118:119], v[64:65]
	v_fmac_f64_e32 v[102:103], v[106:107], v[58:59]
	v_fma_f64 v[106:107], v[120:121], v[62:63], -v[22:23]
	s_waitcnt vmcnt(0)
	v_mul_f64 v[22:23], v[122:123], v[68:69]
	v_add_f64 v[24:25], v[26:27], v[78:79]
	v_mul_f64 v[108:109], v[124:125], v[68:69]
	v_fma_f64 v[68:69], v[124:125], v[66:67], -v[22:23]
	v_add_f64 v[22:23], v[70:71], v[26:27]
	v_fmac_f64_e32 v[70:71], -0.5, v[24:25]
	v_add_f64 v[24:25], v[42:43], -v[32:33]
	v_fma_f64 v[30:31], s[4:5], v[24:25], v[70:71]
	v_fmac_f64_e32 v[70:71], s[10:11], v[24:25]
	v_add_f64 v[24:25], v[72:73], v[42:43]
	v_add_f64 v[24:25], v[24:25], v[32:33]
	v_add_f64 v[32:33], v[42:43], v[32:33]
	v_fmac_f64_e32 v[72:73], -0.5, v[32:33]
	v_add_f64 v[26:27], v[26:27], -v[78:79]
	v_fma_f64 v[32:33], s[10:11], v[26:27], v[72:73]
	v_fmac_f64_e32 v[72:73], s[4:5], v[26:27]
	v_add_f64 v[26:27], v[12:13], v[74:75]
	v_add_f64 v[34:35], v[26:27], v[94:95]
	;; [unrolled: 7-line block ×3, first 2 shown]
	v_add_f64 v[26:27], v[76:77], v[40:41]
	v_fmac_f64_e32 v[90:91], v[98:99], v[50:51]
	v_fmac_f64_e32 v[14:15], -0.5, v[26:27]
	v_add_f64 v[26:27], v[74:75], -v[94:95]
	v_fma_f64 v[40:41], s[10:11], v[26:27], v[14:15]
	v_fmac_f64_e32 v[14:15], s[4:5], v[26:27]
	v_add_f64 v[26:27], v[8:9], v[90:91]
	v_add_f64 v[46:47], v[26:27], v[92:93]
	;; [unrolled: 1-line block ×3, first 2 shown]
	v_fmac_f64_e32 v[8:9], -0.5, v[26:27]
	v_add_f64 v[26:27], v[52:53], -v[96:97]
	v_fma_f64 v[50:51], s[4:5], v[26:27], v[8:9]
	v_fmac_f64_e32 v[8:9], s[10:11], v[26:27]
	v_add_f64 v[26:27], v[10:11], v[52:53]
	v_mul_f64 v[98:99], v[116:117], v[56:57]
	v_add_f64 v[48:49], v[26:27], v[96:97]
	v_add_f64 v[26:27], v[52:53], v[96:97]
	v_fmac_f64_e32 v[98:99], v[114:115], v[54:55]
	v_fmac_f64_e32 v[10:11], -0.5, v[26:27]
	v_add_f64 v[26:27], v[90:91], -v[92:93]
	v_fma_f64 v[52:53], s[10:11], v[26:27], v[10:11]
	v_fmac_f64_e32 v[10:11], s[4:5], v[26:27]
	v_add_f64 v[26:27], v[4:5], v[98:99]
	v_add_f64 v[54:55], v[26:27], v[102:103]
	;; [unrolled: 1-line block ×3, first 2 shown]
	v_fmac_f64_e32 v[4:5], -0.5, v[26:27]
	v_add_f64 v[26:27], v[100:101], -v[60:61]
	v_add_f64 v[22:23], v[22:23], v[78:79]
	v_fma_f64 v[58:59], s[4:5], v[26:27], v[4:5]
	v_fmac_f64_e32 v[4:5], s[10:11], v[26:27]
	v_add_f64 v[26:27], v[6:7], v[100:101]
	v_mul_f64 v[104:105], v[120:121], v[64:65]
	v_add_f64 v[56:57], v[26:27], v[60:61]
	v_add_f64 v[26:27], v[100:101], v[60:61]
	ds_write_b128 v85, v[22:25]
	ds_write_b128 v85, v[30:33] offset:800
	ds_write_b128 v85, v[70:73] offset:1600
	v_mov_b32_e32 v22, 0x960
	v_fmac_f64_e32 v[104:105], v[118:119], v[62:63]
	v_fmac_f64_e32 v[6:7], -0.5, v[26:27]
	v_add_f64 v[26:27], v[98:99], -v[102:103]
	v_cndmask_b32_e32 v22, 0, v22, vcc
	v_fmac_f64_e32 v[108:109], v[122:123], v[66:67]
	v_fma_f64 v[60:61], s[10:11], v[26:27], v[6:7]
	v_fmac_f64_e32 v[6:7], s[4:5], v[26:27]
	v_add_f64 v[26:27], v[0:1], v[104:105]
	v_add_u32_e32 v22, 0, v22
	v_lshlrev_b32_e32 v23, 4, v29
	v_add_f64 v[62:63], v[26:27], v[108:109]
	v_add_f64 v[26:27], v[104:105], v[108:109]
	v_add3_u32 v22, v22, v23, v88
	v_fmac_f64_e32 v[0:1], -0.5, v[26:27]
	v_add_f64 v[26:27], v[106:107], -v[68:69]
	ds_write_b128 v22, v[34:37]
	ds_write_b128 v22, v[38:41] offset:800
	ds_write_b128 v22, v[12:15] offset:1600
	ds_write_b128 v85, v[46:49] offset:2560
	ds_write_b128 v85, v[50:53] offset:3360
	ds_write_b128 v85, v[8:11] offset:4160
	v_mad_u32_u24 v8, v16, s12, 0
	v_lshlrev_b32_sdwa v9, v28, v89 dst_sel:DWORD dst_unused:UNUSED_PAD src0_sel:DWORD src1_sel:BYTE_0
	v_fma_f64 v[66:67], s[4:5], v[26:27], v[0:1]
	v_fmac_f64_e32 v[0:1], s[10:11], v[26:27]
	v_add_f64 v[26:27], v[2:3], v[106:107]
	v_add3_u32 v8, v8, v9, v88
	v_add_f64 v[64:65], v[26:27], v[68:69]
	v_add_f64 v[26:27], v[106:107], v[68:69]
	ds_write_b128 v8, v[54:57]
	ds_write_b128 v8, v[58:61] offset:800
	ds_write_b128 v8, v[4:7] offset:1600
	v_lshlrev_b32_sdwa v4, v28, v126 dst_sel:DWORD dst_unused:UNUSED_PAD src0_sel:DWORD src1_sel:BYTE_0
	v_fmac_f64_e32 v[2:3], -0.5, v[26:27]
	v_add_f64 v[26:27], v[104:105], -v[108:109]
	v_add3_u32 v4, 0, v4, v88
	v_fma_f64 v[68:69], s[10:11], v[26:27], v[2:3]
	v_fmac_f64_e32 v[2:3], s[4:5], v[26:27]
	ds_write_b128 v4, v[62:65] offset:4800
	ds_write_b128 v4, v[66:69] offset:5600
	;; [unrolled: 1-line block ×3, first 2 shown]
	s_waitcnt lgkmcnt(0)
	s_barrier
	global_load_dwordx4 v[12:15], v[18:19], off offset:2240
	global_load_dwordx4 v[22:25], v[18:19], off offset:2256
	v_lshlrev_b32_e32 v16, 1, v44
	v_lshl_add_u64 v[0:1], v[16:17], 4, s[8:9]
	global_load_dwordx4 v[26:29], v[0:1], off offset:2240
	global_load_dwordx4 v[30:33], v[0:1], off offset:2256
	v_lshlrev_b32_e32 v16, 1, v45
	v_lshl_add_u64 v[0:1], v[16:17], 4, s[8:9]
	;; [unrolled: 4-line block ×4, first 2 shown]
	global_load_dwordx4 v[18:21], v[0:1], off offset:2240
	global_load_dwordx4 v[50:53], v[0:1], off offset:2256
	ds_read_b128 v[54:57], v87
	ds_read_b128 v[58:61], v85 offset:480
	ds_read_b128 v[62:65], v85 offset:4800
	;; [unrolled: 1-line block ×14, first 2 shown]
	s_waitcnt lgkmcnt(0)
	s_barrier
	s_waitcnt vmcnt(9)
	v_mul_f64 v[78:79], v[98:99], v[14:15]
	v_mul_f64 v[14:15], v[96:97], v[14:15]
	v_fmac_f64_e32 v[78:79], v[96:97], v[12:13]
	v_fma_f64 v[96:97], v[98:99], v[12:13], -v[14:15]
	s_waitcnt vmcnt(8)
	v_mul_f64 v[98:99], v[64:65], v[24:25]
	v_mul_f64 v[12:13], v[62:63], v[24:25]
	v_fmac_f64_e32 v[98:99], v[62:63], v[22:23]
	v_fma_f64 v[22:23], v[64:65], v[22:23], -v[12:13]
	s_waitcnt vmcnt(7)
	v_mul_f64 v[12:13], v[70:71], v[28:29]
	v_mul_f64 v[62:63], v[72:73], v[28:29]
	v_fma_f64 v[28:29], v[72:73], v[26:27], -v[12:13]
	s_waitcnt vmcnt(6)
	v_mul_f64 v[64:65], v[68:69], v[32:33]
	v_mul_f64 v[12:13], v[66:67], v[32:33]
	v_fmac_f64_e32 v[64:65], v[66:67], v[30:31]
	v_fma_f64 v[30:31], v[68:69], v[30:31], -v[12:13]
	s_waitcnt vmcnt(5)
	v_mul_f64 v[12:13], v[74:75], v[36:37]
	v_mul_f64 v[66:67], v[76:77], v[36:37]
	v_fma_f64 v[36:37], v[76:77], v[34:35], -v[12:13]
	s_waitcnt vmcnt(4)
	v_mul_f64 v[68:69], v[90:91], v[40:41]
	v_mul_f64 v[12:13], v[88:89], v[40:41]
	v_fmac_f64_e32 v[68:69], v[88:89], v[38:39]
	v_fma_f64 v[38:39], v[90:91], v[38:39], -v[12:13]
	s_waitcnt vmcnt(3)
	v_mul_f64 v[12:13], v[100:101], v[44:45]
	v_fmac_f64_e32 v[62:63], v[70:71], v[26:27]
	v_mul_f64 v[70:71], v[102:103], v[44:45]
	v_fma_f64 v[44:45], v[102:103], v[42:43], -v[12:13]
	s_waitcnt vmcnt(2)
	v_mul_f64 v[72:73], v[94:95], v[48:49]
	v_mul_f64 v[12:13], v[92:93], v[48:49]
	v_fmac_f64_e32 v[72:73], v[92:93], v[46:47]
	v_fma_f64 v[46:47], v[94:95], v[46:47], -v[12:13]
	s_waitcnt vmcnt(1)
	v_mul_f64 v[12:13], v[104:105], v[20:21]
	v_fma_f64 v[76:77], v[106:107], v[18:19], -v[12:13]
	s_waitcnt vmcnt(0)
	v_mul_f64 v[12:13], v[108:109], v[52:53]
	v_add_f64 v[14:15], v[78:79], v[98:99]
	v_fmac_f64_e32 v[66:67], v[74:75], v[34:35]
	v_mul_f64 v[74:75], v[106:107], v[20:21]
	v_mul_f64 v[88:89], v[110:111], v[52:53]
	v_fma_f64 v[52:53], v[110:111], v[50:51], -v[12:13]
	v_add_f64 v[12:13], v[54:55], v[78:79]
	v_fmac_f64_e32 v[54:55], -0.5, v[14:15]
	v_add_f64 v[14:15], v[96:97], -v[22:23]
	v_fmac_f64_e32 v[74:75], v[104:105], v[18:19]
	v_fma_f64 v[18:19], s[4:5], v[14:15], v[54:55]
	v_fmac_f64_e32 v[54:55], s[10:11], v[14:15]
	v_add_f64 v[14:15], v[56:57], v[96:97]
	v_add_f64 v[20:21], v[96:97], v[22:23]
	;; [unrolled: 1-line block ×3, first 2 shown]
	v_fmac_f64_e32 v[56:57], -0.5, v[20:21]
	v_add_f64 v[22:23], v[78:79], -v[98:99]
	v_add_f64 v[24:25], v[62:63], v[64:65]
	v_fma_f64 v[20:21], s[10:11], v[22:23], v[56:57]
	v_fmac_f64_e32 v[56:57], s[4:5], v[22:23]
	v_add_f64 v[22:23], v[58:59], v[62:63]
	v_fmac_f64_e32 v[58:59], -0.5, v[24:25]
	v_add_f64 v[24:25], v[28:29], -v[30:31]
	v_fma_f64 v[26:27], s[4:5], v[24:25], v[58:59]
	v_fmac_f64_e32 v[58:59], s[10:11], v[24:25]
	v_add_f64 v[24:25], v[60:61], v[28:29]
	v_add_f64 v[28:29], v[28:29], v[30:31]
	;; [unrolled: 1-line block ×3, first 2 shown]
	v_fmac_f64_e32 v[60:61], -0.5, v[28:29]
	v_add_f64 v[30:31], v[62:63], -v[64:65]
	v_add_f64 v[32:33], v[66:67], v[68:69]
	v_fma_f64 v[28:29], s[10:11], v[30:31], v[60:61]
	v_fmac_f64_e32 v[60:61], s[4:5], v[30:31]
	v_add_f64 v[30:31], v[8:9], v[66:67]
	v_fmac_f64_e32 v[8:9], -0.5, v[32:33]
	v_add_f64 v[32:33], v[36:37], -v[38:39]
	v_fmac_f64_e32 v[70:71], v[100:101], v[42:43]
	v_fma_f64 v[34:35], s[4:5], v[32:33], v[8:9]
	v_fmac_f64_e32 v[8:9], s[10:11], v[32:33]
	v_add_f64 v[32:33], v[10:11], v[36:37]
	v_add_f64 v[36:37], v[36:37], v[38:39]
	;; [unrolled: 1-line block ×3, first 2 shown]
	v_fmac_f64_e32 v[10:11], -0.5, v[36:37]
	v_add_f64 v[38:39], v[66:67], -v[68:69]
	v_add_f64 v[40:41], v[70:71], v[72:73]
	v_fma_f64 v[36:37], s[10:11], v[38:39], v[10:11]
	v_fmac_f64_e32 v[10:11], s[4:5], v[38:39]
	v_add_f64 v[38:39], v[4:5], v[70:71]
	v_fmac_f64_e32 v[4:5], -0.5, v[40:41]
	v_add_f64 v[40:41], v[44:45], -v[46:47]
	v_fmac_f64_e32 v[88:89], v[108:109], v[50:51]
	v_fma_f64 v[42:43], s[4:5], v[40:41], v[4:5]
	v_fmac_f64_e32 v[4:5], s[10:11], v[40:41]
	v_add_f64 v[40:41], v[6:7], v[44:45]
	v_add_f64 v[44:45], v[44:45], v[46:47]
	;; [unrolled: 1-line block ×3, first 2 shown]
	v_fmac_f64_e32 v[6:7], -0.5, v[44:45]
	v_add_f64 v[46:47], v[70:71], -v[72:73]
	v_add_f64 v[48:49], v[74:75], v[88:89]
	v_fma_f64 v[44:45], s[10:11], v[46:47], v[6:7]
	v_fmac_f64_e32 v[6:7], s[4:5], v[46:47]
	v_add_f64 v[46:47], v[0:1], v[74:75]
	v_fmac_f64_e32 v[0:1], -0.5, v[48:49]
	v_add_f64 v[48:49], v[76:77], -v[52:53]
	v_fma_f64 v[50:51], s[4:5], v[48:49], v[0:1]
	v_fmac_f64_e32 v[0:1], s[10:11], v[48:49]
	v_add_f64 v[48:49], v[2:3], v[76:77]
	v_add_f64 v[48:49], v[48:49], v[52:53]
	;; [unrolled: 1-line block ×4, first 2 shown]
	v_fmac_f64_e32 v[2:3], -0.5, v[52:53]
	v_add_f64 v[62:63], v[74:75], -v[88:89]
	v_add_f64 v[22:23], v[22:23], v[64:65]
	v_add_f64 v[30:31], v[30:31], v[68:69]
	;; [unrolled: 1-line block ×4, first 2 shown]
	v_fma_f64 v[52:53], s[10:11], v[62:63], v[2:3]
	v_fmac_f64_e32 v[2:3], s[4:5], v[62:63]
	ds_write_b128 v85, v[12:15]
	ds_write_b128 v85, v[18:21] offset:2400
	ds_write_b128 v85, v[54:57] offset:4800
	;; [unrolled: 1-line block ×14, first 2 shown]
	s_waitcnt lgkmcnt(0)
	s_barrier
	s_and_saveexec_b64 s[4:5], s[0:1]
	s_cbranch_execz .LBB0_25
; %bb.24:
	v_mul_lo_u32 v0, s3, v82
	v_mul_lo_u32 v1, s2, v83
	v_mad_u64_u32 v[4:5], s[0:1], s2, v82, 0
	v_lshl_add_u32 v12, v84, 4, v86
	v_add3_u32 v5, v5, v1, v0
	ds_read_b128 v[0:3], v12
	v_lshl_add_u64 v[4:5], v[4:5], 4, s[6:7]
	v_mov_b32_e32 v85, v17
	v_lshl_add_u64 v[8:9], v[80:81], 4, v[4:5]
	ds_read_b128 v[4:7], v12 offset:480
	v_lshl_add_u64 v[10:11], v[84:85], 4, v[8:9]
	s_waitcnt lgkmcnt(1)
	global_store_dwordx4 v[10:11], v[0:3], off
	ds_read_b128 v[0:3], v12 offset:960
	v_add_u32_e32 v16, 30, v84
	v_lshl_add_u64 v[10:11], v[16:17], 4, v[8:9]
	v_add_u32_e32 v16, 60, v84
	s_waitcnt lgkmcnt(1)
	global_store_dwordx4 v[10:11], v[4:7], off
	ds_read_b128 v[4:7], v12 offset:1440
	v_lshl_add_u64 v[10:11], v[16:17], 4, v[8:9]
	s_waitcnt lgkmcnt(1)
	global_store_dwordx4 v[10:11], v[0:3], off
	ds_read_b128 v[0:3], v12 offset:1920
	v_add_u32_e32 v16, 0x5a, v84
	v_lshl_add_u64 v[10:11], v[16:17], 4, v[8:9]
	v_add_u32_e32 v16, 0x78, v84
	s_waitcnt lgkmcnt(1)
	global_store_dwordx4 v[10:11], v[4:7], off
	;; [unrolled: 10-line block ×7, first 2 shown]
	s_nop 1
	v_lshl_add_u64 v[4:5], v[16:17], 4, v[8:9]
	s_waitcnt lgkmcnt(0)
	global_store_dwordx4 v[4:5], v[0:3], off
.LBB0_25:
	s_endpgm
	.section	.rodata,"a",@progbits
	.p2align	6, 0x0
	.amdhsa_kernel fft_rtc_back_len450_factors_10_5_3_3_wgs_120_tpt_30_halfLds_dp_op_CI_CI_unitstride_sbrr_C2R_dirReg
		.amdhsa_group_segment_fixed_size 0
		.amdhsa_private_segment_fixed_size 0
		.amdhsa_kernarg_size 104
		.amdhsa_user_sgpr_count 2
		.amdhsa_user_sgpr_dispatch_ptr 0
		.amdhsa_user_sgpr_queue_ptr 0
		.amdhsa_user_sgpr_kernarg_segment_ptr 1
		.amdhsa_user_sgpr_dispatch_id 0
		.amdhsa_user_sgpr_kernarg_preload_length 0
		.amdhsa_user_sgpr_kernarg_preload_offset 0
		.amdhsa_user_sgpr_private_segment_size 0
		.amdhsa_uses_dynamic_stack 0
		.amdhsa_enable_private_segment 0
		.amdhsa_system_sgpr_workgroup_id_x 1
		.amdhsa_system_sgpr_workgroup_id_y 0
		.amdhsa_system_sgpr_workgroup_id_z 0
		.amdhsa_system_sgpr_workgroup_info 0
		.amdhsa_system_vgpr_workitem_id 0
		.amdhsa_next_free_vgpr 127
		.amdhsa_next_free_sgpr 28
		.amdhsa_accum_offset 128
		.amdhsa_reserve_vcc 1
		.amdhsa_float_round_mode_32 0
		.amdhsa_float_round_mode_16_64 0
		.amdhsa_float_denorm_mode_32 3
		.amdhsa_float_denorm_mode_16_64 3
		.amdhsa_dx10_clamp 1
		.amdhsa_ieee_mode 1
		.amdhsa_fp16_overflow 0
		.amdhsa_tg_split 0
		.amdhsa_exception_fp_ieee_invalid_op 0
		.amdhsa_exception_fp_denorm_src 0
		.amdhsa_exception_fp_ieee_div_zero 0
		.amdhsa_exception_fp_ieee_overflow 0
		.amdhsa_exception_fp_ieee_underflow 0
		.amdhsa_exception_fp_ieee_inexact 0
		.amdhsa_exception_int_div_zero 0
	.end_amdhsa_kernel
	.text
.Lfunc_end0:
	.size	fft_rtc_back_len450_factors_10_5_3_3_wgs_120_tpt_30_halfLds_dp_op_CI_CI_unitstride_sbrr_C2R_dirReg, .Lfunc_end0-fft_rtc_back_len450_factors_10_5_3_3_wgs_120_tpt_30_halfLds_dp_op_CI_CI_unitstride_sbrr_C2R_dirReg
                                        ; -- End function
	.section	.AMDGPU.csdata,"",@progbits
; Kernel info:
; codeLenInByte = 10600
; NumSgprs: 34
; NumVgprs: 127
; NumAgprs: 0
; TotalNumVgprs: 127
; ScratchSize: 0
; MemoryBound: 0
; FloatMode: 240
; IeeeMode: 1
; LDSByteSize: 0 bytes/workgroup (compile time only)
; SGPRBlocks: 4
; VGPRBlocks: 15
; NumSGPRsForWavesPerEU: 34
; NumVGPRsForWavesPerEU: 127
; AccumOffset: 128
; Occupancy: 4
; WaveLimiterHint : 1
; COMPUTE_PGM_RSRC2:SCRATCH_EN: 0
; COMPUTE_PGM_RSRC2:USER_SGPR: 2
; COMPUTE_PGM_RSRC2:TRAP_HANDLER: 0
; COMPUTE_PGM_RSRC2:TGID_X_EN: 1
; COMPUTE_PGM_RSRC2:TGID_Y_EN: 0
; COMPUTE_PGM_RSRC2:TGID_Z_EN: 0
; COMPUTE_PGM_RSRC2:TIDIG_COMP_CNT: 0
; COMPUTE_PGM_RSRC3_GFX90A:ACCUM_OFFSET: 31
; COMPUTE_PGM_RSRC3_GFX90A:TG_SPLIT: 0
	.text
	.p2alignl 6, 3212836864
	.fill 256, 4, 3212836864
	.type	__hip_cuid_88cf9502ba229eca,@object ; @__hip_cuid_88cf9502ba229eca
	.section	.bss,"aw",@nobits
	.globl	__hip_cuid_88cf9502ba229eca
__hip_cuid_88cf9502ba229eca:
	.byte	0                               ; 0x0
	.size	__hip_cuid_88cf9502ba229eca, 1

	.ident	"AMD clang version 19.0.0git (https://github.com/RadeonOpenCompute/llvm-project roc-6.4.0 25133 c7fe45cf4b819c5991fe208aaa96edf142730f1d)"
	.section	".note.GNU-stack","",@progbits
	.addrsig
	.addrsig_sym __hip_cuid_88cf9502ba229eca
	.amdgpu_metadata
---
amdhsa.kernels:
  - .agpr_count:     0
    .args:
      - .actual_access:  read_only
        .address_space:  global
        .offset:         0
        .size:           8
        .value_kind:     global_buffer
      - .offset:         8
        .size:           8
        .value_kind:     by_value
      - .actual_access:  read_only
        .address_space:  global
        .offset:         16
        .size:           8
        .value_kind:     global_buffer
      - .actual_access:  read_only
        .address_space:  global
        .offset:         24
        .size:           8
        .value_kind:     global_buffer
      - .actual_access:  read_only
        .address_space:  global
        .offset:         32
        .size:           8
        .value_kind:     global_buffer
      - .offset:         40
        .size:           8
        .value_kind:     by_value
      - .actual_access:  read_only
        .address_space:  global
        .offset:         48
        .size:           8
        .value_kind:     global_buffer
      - .actual_access:  read_only
        .address_space:  global
        .offset:         56
        .size:           8
        .value_kind:     global_buffer
      - .offset:         64
        .size:           4
        .value_kind:     by_value
      - .actual_access:  read_only
        .address_space:  global
        .offset:         72
        .size:           8
        .value_kind:     global_buffer
      - .actual_access:  read_only
        .address_space:  global
        .offset:         80
        .size:           8
        .value_kind:     global_buffer
      - .actual_access:  read_only
        .address_space:  global
        .offset:         88
        .size:           8
        .value_kind:     global_buffer
      - .actual_access:  write_only
        .address_space:  global
        .offset:         96
        .size:           8
        .value_kind:     global_buffer
    .group_segment_fixed_size: 0
    .kernarg_segment_align: 8
    .kernarg_segment_size: 104
    .language:       OpenCL C
    .language_version:
      - 2
      - 0
    .max_flat_workgroup_size: 120
    .name:           fft_rtc_back_len450_factors_10_5_3_3_wgs_120_tpt_30_halfLds_dp_op_CI_CI_unitstride_sbrr_C2R_dirReg
    .private_segment_fixed_size: 0
    .sgpr_count:     34
    .sgpr_spill_count: 0
    .symbol:         fft_rtc_back_len450_factors_10_5_3_3_wgs_120_tpt_30_halfLds_dp_op_CI_CI_unitstride_sbrr_C2R_dirReg.kd
    .uniform_work_group_size: 1
    .uses_dynamic_stack: false
    .vgpr_count:     127
    .vgpr_spill_count: 0
    .wavefront_size: 64
amdhsa.target:   amdgcn-amd-amdhsa--gfx950
amdhsa.version:
  - 1
  - 2
...

	.end_amdgpu_metadata
